;; amdgpu-corpus repo=ROCm/rocFFT kind=compiled arch=gfx906 opt=O3
	.text
	.amdgcn_target "amdgcn-amd-amdhsa--gfx906"
	.amdhsa_code_object_version 6
	.protected	fft_rtc_fwd_len234_factors_13_9_2_wgs_52_tpt_26_dp_ip_CI_unitstride_sbrr_R2C_dirReg ; -- Begin function fft_rtc_fwd_len234_factors_13_9_2_wgs_52_tpt_26_dp_ip_CI_unitstride_sbrr_R2C_dirReg
	.globl	fft_rtc_fwd_len234_factors_13_9_2_wgs_52_tpt_26_dp_ip_CI_unitstride_sbrr_R2C_dirReg
	.p2align	8
	.type	fft_rtc_fwd_len234_factors_13_9_2_wgs_52_tpt_26_dp_ip_CI_unitstride_sbrr_R2C_dirReg,@function
fft_rtc_fwd_len234_factors_13_9_2_wgs_52_tpt_26_dp_ip_CI_unitstride_sbrr_R2C_dirReg: ; @fft_rtc_fwd_len234_factors_13_9_2_wgs_52_tpt_26_dp_ip_CI_unitstride_sbrr_R2C_dirReg
; %bb.0:
	s_load_dwordx2 s[12:13], s[4:5], 0x50
	s_load_dwordx4 s[8:11], s[4:5], 0x0
	s_load_dwordx2 s[2:3], s[4:5], 0x18
	v_mul_u32_u24_e32 v1, 0x9d9, v0
	v_lshrrev_b32_e32 v9, 16, v1
	v_mov_b32_e32 v3, 0
	s_waitcnt lgkmcnt(0)
	v_cmp_lt_u64_e64 s[0:1], s[10:11], 2
	v_mov_b32_e32 v1, 0
	v_lshl_add_u32 v5, s6, 1, v9
	v_mov_b32_e32 v6, v3
	s_and_b64 vcc, exec, s[0:1]
	v_mov_b32_e32 v2, 0
	s_cbranch_vccnz .LBB0_8
; %bb.1:
	s_load_dwordx2 s[0:1], s[4:5], 0x10
	s_add_u32 s6, s2, 8
	s_addc_u32 s7, s3, 0
	v_mov_b32_e32 v1, 0
	v_mov_b32_e32 v2, 0
	s_waitcnt lgkmcnt(0)
	s_add_u32 s14, s0, 8
	s_addc_u32 s15, s1, 0
	s_mov_b64 s[16:17], 1
.LBB0_2:                                ; =>This Inner Loop Header: Depth=1
	s_load_dwordx2 s[18:19], s[14:15], 0x0
                                        ; implicit-def: $vgpr7_vgpr8
	s_waitcnt lgkmcnt(0)
	v_or_b32_e32 v4, s19, v6
	v_cmp_ne_u64_e32 vcc, 0, v[3:4]
	s_and_saveexec_b64 s[0:1], vcc
	s_xor_b64 s[20:21], exec, s[0:1]
	s_cbranch_execz .LBB0_4
; %bb.3:                                ;   in Loop: Header=BB0_2 Depth=1
	v_cvt_f32_u32_e32 v4, s18
	v_cvt_f32_u32_e32 v7, s19
	s_sub_u32 s0, 0, s18
	s_subb_u32 s1, 0, s19
	v_mac_f32_e32 v4, 0x4f800000, v7
	v_rcp_f32_e32 v4, v4
	v_mul_f32_e32 v4, 0x5f7ffffc, v4
	v_mul_f32_e32 v7, 0x2f800000, v4
	v_trunc_f32_e32 v7, v7
	v_mac_f32_e32 v4, 0xcf800000, v7
	v_cvt_u32_f32_e32 v7, v7
	v_cvt_u32_f32_e32 v4, v4
	v_mul_lo_u32 v8, s0, v7
	v_mul_hi_u32 v10, s0, v4
	v_mul_lo_u32 v12, s1, v4
	v_mul_lo_u32 v11, s0, v4
	v_add_u32_e32 v8, v10, v8
	v_add_u32_e32 v8, v8, v12
	v_mul_hi_u32 v10, v4, v11
	v_mul_lo_u32 v12, v4, v8
	v_mul_hi_u32 v14, v4, v8
	v_mul_hi_u32 v13, v7, v11
	v_mul_lo_u32 v11, v7, v11
	v_mul_hi_u32 v15, v7, v8
	v_add_co_u32_e32 v10, vcc, v10, v12
	v_addc_co_u32_e32 v12, vcc, 0, v14, vcc
	v_mul_lo_u32 v8, v7, v8
	v_add_co_u32_e32 v10, vcc, v10, v11
	v_addc_co_u32_e32 v10, vcc, v12, v13, vcc
	v_addc_co_u32_e32 v11, vcc, 0, v15, vcc
	v_add_co_u32_e32 v8, vcc, v10, v8
	v_addc_co_u32_e32 v10, vcc, 0, v11, vcc
	v_add_co_u32_e32 v4, vcc, v4, v8
	v_addc_co_u32_e32 v7, vcc, v7, v10, vcc
	v_mul_lo_u32 v8, s0, v7
	v_mul_hi_u32 v10, s0, v4
	v_mul_lo_u32 v11, s1, v4
	v_mul_lo_u32 v12, s0, v4
	v_add_u32_e32 v8, v10, v8
	v_add_u32_e32 v8, v8, v11
	v_mul_lo_u32 v13, v4, v8
	v_mul_hi_u32 v14, v4, v12
	v_mul_hi_u32 v15, v4, v8
	;; [unrolled: 1-line block ×3, first 2 shown]
	v_mul_lo_u32 v12, v7, v12
	v_mul_hi_u32 v10, v7, v8
	v_add_co_u32_e32 v13, vcc, v14, v13
	v_addc_co_u32_e32 v14, vcc, 0, v15, vcc
	v_mul_lo_u32 v8, v7, v8
	v_add_co_u32_e32 v12, vcc, v13, v12
	v_addc_co_u32_e32 v11, vcc, v14, v11, vcc
	v_addc_co_u32_e32 v10, vcc, 0, v10, vcc
	v_add_co_u32_e32 v8, vcc, v11, v8
	v_addc_co_u32_e32 v10, vcc, 0, v10, vcc
	v_add_co_u32_e32 v4, vcc, v4, v8
	v_addc_co_u32_e32 v10, vcc, v7, v10, vcc
	v_mad_u64_u32 v[7:8], s[0:1], v5, v10, 0
	v_mul_hi_u32 v11, v5, v4
	v_add_co_u32_e32 v12, vcc, v11, v7
	v_addc_co_u32_e32 v13, vcc, 0, v8, vcc
	v_mad_u64_u32 v[7:8], s[0:1], v6, v4, 0
	v_mad_u64_u32 v[10:11], s[0:1], v6, v10, 0
	v_add_co_u32_e32 v4, vcc, v12, v7
	v_addc_co_u32_e32 v4, vcc, v13, v8, vcc
	v_addc_co_u32_e32 v7, vcc, 0, v11, vcc
	v_add_co_u32_e32 v4, vcc, v4, v10
	v_addc_co_u32_e32 v10, vcc, 0, v7, vcc
	v_mul_lo_u32 v11, s19, v4
	v_mul_lo_u32 v12, s18, v10
	v_mad_u64_u32 v[7:8], s[0:1], s18, v4, 0
	v_add3_u32 v8, v8, v12, v11
	v_sub_u32_e32 v11, v6, v8
	v_mov_b32_e32 v12, s19
	v_sub_co_u32_e32 v7, vcc, v5, v7
	v_subb_co_u32_e64 v11, s[0:1], v11, v12, vcc
	v_subrev_co_u32_e64 v12, s[0:1], s18, v7
	v_subbrev_co_u32_e64 v11, s[0:1], 0, v11, s[0:1]
	v_cmp_le_u32_e64 s[0:1], s19, v11
	v_cndmask_b32_e64 v13, 0, -1, s[0:1]
	v_cmp_le_u32_e64 s[0:1], s18, v12
	v_cndmask_b32_e64 v12, 0, -1, s[0:1]
	v_cmp_eq_u32_e64 s[0:1], s19, v11
	v_cndmask_b32_e64 v11, v13, v12, s[0:1]
	v_add_co_u32_e64 v12, s[0:1], 2, v4
	v_addc_co_u32_e64 v13, s[0:1], 0, v10, s[0:1]
	v_add_co_u32_e64 v14, s[0:1], 1, v4
	v_addc_co_u32_e64 v15, s[0:1], 0, v10, s[0:1]
	v_subb_co_u32_e32 v8, vcc, v6, v8, vcc
	v_cmp_ne_u32_e64 s[0:1], 0, v11
	v_cmp_le_u32_e32 vcc, s19, v8
	v_cndmask_b32_e64 v11, v15, v13, s[0:1]
	v_cndmask_b32_e64 v13, 0, -1, vcc
	v_cmp_le_u32_e32 vcc, s18, v7
	v_cndmask_b32_e64 v7, 0, -1, vcc
	v_cmp_eq_u32_e32 vcc, s19, v8
	v_cndmask_b32_e32 v7, v13, v7, vcc
	v_cmp_ne_u32_e32 vcc, 0, v7
	v_cndmask_b32_e64 v7, v14, v12, s[0:1]
	v_cndmask_b32_e32 v8, v10, v11, vcc
	v_cndmask_b32_e32 v7, v4, v7, vcc
.LBB0_4:                                ;   in Loop: Header=BB0_2 Depth=1
	s_andn2_saveexec_b64 s[0:1], s[20:21]
	s_cbranch_execz .LBB0_6
; %bb.5:                                ;   in Loop: Header=BB0_2 Depth=1
	v_cvt_f32_u32_e32 v4, s18
	s_sub_i32 s20, 0, s18
	v_rcp_iflag_f32_e32 v4, v4
	v_mul_f32_e32 v4, 0x4f7ffffe, v4
	v_cvt_u32_f32_e32 v4, v4
	v_mul_lo_u32 v7, s20, v4
	v_mul_hi_u32 v7, v4, v7
	v_add_u32_e32 v4, v4, v7
	v_mul_hi_u32 v4, v5, v4
	v_mul_lo_u32 v7, v4, s18
	v_add_u32_e32 v8, 1, v4
	v_sub_u32_e32 v7, v5, v7
	v_subrev_u32_e32 v10, s18, v7
	v_cmp_le_u32_e32 vcc, s18, v7
	v_cndmask_b32_e32 v7, v7, v10, vcc
	v_cndmask_b32_e32 v4, v4, v8, vcc
	v_add_u32_e32 v8, 1, v4
	v_cmp_le_u32_e32 vcc, s18, v7
	v_cndmask_b32_e32 v7, v4, v8, vcc
	v_mov_b32_e32 v8, v3
.LBB0_6:                                ;   in Loop: Header=BB0_2 Depth=1
	s_or_b64 exec, exec, s[0:1]
	v_mul_lo_u32 v4, v8, s18
	v_mul_lo_u32 v12, v7, s19
	v_mad_u64_u32 v[10:11], s[0:1], v7, s18, 0
	s_load_dwordx2 s[0:1], s[6:7], 0x0
	s_add_u32 s16, s16, 1
	v_add3_u32 v4, v11, v12, v4
	v_sub_co_u32_e32 v5, vcc, v5, v10
	v_subb_co_u32_e32 v4, vcc, v6, v4, vcc
	s_waitcnt lgkmcnt(0)
	v_mul_lo_u32 v4, s0, v4
	v_mul_lo_u32 v6, s1, v5
	v_mad_u64_u32 v[1:2], s[0:1], s0, v5, v[1:2]
	s_addc_u32 s17, s17, 0
	s_add_u32 s6, s6, 8
	v_add3_u32 v2, v6, v2, v4
	v_mov_b32_e32 v4, s10
	v_mov_b32_e32 v5, s11
	s_addc_u32 s7, s7, 0
	v_cmp_ge_u64_e32 vcc, s[16:17], v[4:5]
	s_add_u32 s14, s14, 8
	s_addc_u32 s15, s15, 0
	s_cbranch_vccnz .LBB0_9
; %bb.7:                                ;   in Loop: Header=BB0_2 Depth=1
	v_mov_b32_e32 v5, v7
	v_mov_b32_e32 v6, v8
	s_branch .LBB0_2
.LBB0_8:
	v_mov_b32_e32 v8, v6
	v_mov_b32_e32 v7, v5
.LBB0_9:
	s_lshl_b64 s[0:1], s[10:11], 3
	s_add_u32 s0, s2, s0
	s_addc_u32 s1, s3, s1
	s_load_dwordx2 s[2:3], s[0:1], 0x0
	s_load_dwordx2 s[6:7], s[4:5], 0x20
	v_and_b32_e32 v5, 1, v9
	v_mov_b32_e32 v6, 0xeb
	v_cmp_eq_u32_e32 vcc, 1, v5
	s_waitcnt lgkmcnt(0)
	v_mul_lo_u32 v3, s2, v8
	v_mul_lo_u32 v4, s3, v7
	v_mad_u64_u32 v[1:2], s[0:1], s2, v7, v[1:2]
	s_mov_b32 s0, 0x9d89d8a
	v_cndmask_b32_e32 v144, 0, v6, vcc
	v_add3_u32 v2, v4, v2, v3
	v_mul_hi_u32 v3, v0, s0
	v_cmp_gt_u64_e32 vcc, s[6:7], v[7:8]
	v_lshlrev_b64 v[66:67], 4, v[1:2]
	v_lshlrev_b32_e32 v146, 4, v144
	v_mul_u32_u24_e32 v3, 26, v3
	v_sub_u32_e32 v64, v0, v3
	v_lshlrev_b32_e32 v141, 4, v64
	s_and_saveexec_b64 s[2:3], vcc
	s_cbranch_execz .LBB0_11
; %bb.10:
	v_mov_b32_e32 v65, 0
	v_mov_b32_e32 v0, s13
	v_add_co_u32_e64 v2, s[0:1], s12, v66
	v_addc_co_u32_e64 v3, s[0:1], v0, v67, s[0:1]
	v_lshlrev_b64 v[0:1], 4, v[64:65]
	v_add_co_u32_e64 v36, s[0:1], v2, v0
	v_addc_co_u32_e64 v37, s[0:1], v3, v1, s[0:1]
	global_load_dwordx4 v[0:3], v[36:37], off
	global_load_dwordx4 v[4:7], v[36:37], off offset:416
	global_load_dwordx4 v[8:11], v[36:37], off offset:832
	;; [unrolled: 1-line block ×8, first 2 shown]
	v_add3_u32 v36, 0, v146, v141
	s_waitcnt vmcnt(8)
	ds_write_b128 v36, v[0:3]
	s_waitcnt vmcnt(7)
	ds_write_b128 v36, v[4:7] offset:416
	s_waitcnt vmcnt(6)
	ds_write_b128 v36, v[8:11] offset:832
	s_waitcnt vmcnt(5)
	ds_write_b128 v36, v[12:15] offset:1248
	s_waitcnt vmcnt(4)
	ds_write_b128 v36, v[16:19] offset:1664
	s_waitcnt vmcnt(3)
	ds_write_b128 v36, v[20:23] offset:2080
	s_waitcnt vmcnt(2)
	ds_write_b128 v36, v[24:27] offset:2496
	s_waitcnt vmcnt(1)
	ds_write_b128 v36, v[28:31] offset:2912
	s_waitcnt vmcnt(0)
	ds_write_b128 v36, v[32:35] offset:3328
.LBB0_11:
	s_or_b64 exec, exec, s[2:3]
	v_add_u32_e32 v145, 0, v141
	v_add_u32_e32 v142, v145, v146
	s_waitcnt lgkmcnt(0)
	; wave barrier
	s_waitcnt lgkmcnt(0)
	ds_read_b128 v[4:7], v142 offset:3456
	ds_read_b128 v[8:11], v142 offset:3168
	;; [unrolled: 1-line block ×3, first 2 shown]
	v_add_u32_e32 v143, 0, v146
	v_add_u32_e32 v140, v143, v141
	ds_read_b128 v[16:19], v140
	ds_read_b128 v[28:31], v142 offset:576
	s_mov_b32 s6, 0x2ef20147
	s_waitcnt lgkmcnt(2)
	v_add_f64 v[68:69], v[22:23], -v[6:7]
	s_mov_b32 s7, 0xbfedeba7
	v_add_f64 v[72:73], v[20:21], v[4:5]
	s_waitcnt lgkmcnt(0)
	v_add_f64 v[74:75], v[30:31], -v[10:11]
	v_add_f64 v[80:81], v[20:21], -v[4:5]
	s_mov_b32 s10, 0x24c2f84
	s_mov_b32 s4, 0xb2365da1
	;; [unrolled: 1-line block ×3, first 2 shown]
	v_mul_f64 v[120:121], v[68:69], s[6:7]
	s_mov_b32 s5, 0xbfd6b1d8
	v_add_f64 v[70:71], v[28:29], v[8:9]
	v_mul_f64 v[118:119], v[74:75], s[10:11]
	v_add_f64 v[108:109], v[22:23], v[6:7]
	v_add_f64 v[78:79], v[28:29], -v[8:9]
	v_mul_f64 v[126:127], v[80:81], s[6:7]
	ds_read_b128 v[24:27], v142 offset:864
	ds_read_b128 v[12:15], v142 offset:2880
	v_fma_f64 v[0:1], v[72:73], s[4:5], v[120:121]
	s_mov_b32 s2, 0xd0032e0c
	s_mov_b32 s3, 0xbfe7f3cc
	v_fma_f64 v[2:3], v[70:71], s[2:3], v[118:119]
	s_waitcnt lgkmcnt(0)
	v_add_f64 v[82:83], v[26:27], -v[14:15]
	v_add_f64 v[106:107], v[30:31], v[10:11]
	v_mul_f64 v[124:125], v[78:79], s[10:11]
	v_fma_f64 v[40:41], v[108:109], s[4:5], -v[126:127]
	v_add_f64 v[0:1], v[16:17], v[0:1]
	v_add_f64 v[84:85], v[24:25], -v[12:13]
	s_mov_b32 s26, 0x4267c47c
	s_mov_b32 s27, 0x3fddbe06
	v_add_f64 v[76:77], v[24:25], v[12:13]
	v_mul_f64 v[116:117], v[82:83], s[26:27]
	ds_read_b128 v[32:35], v142 offset:2592
	ds_read_b128 v[36:39], v142 offset:1152
	v_fma_f64 v[48:49], v[106:107], s[2:3], -v[124:125]
	v_add_f64 v[0:1], v[2:3], v[0:1]
	v_add_f64 v[2:3], v[18:19], v[40:41]
	;; [unrolled: 1-line block ×3, first 2 shown]
	v_mul_f64 v[134:135], v[84:85], s[26:27]
	s_waitcnt lgkmcnt(0)
	v_add_f64 v[90:91], v[38:39], -v[34:35]
	v_add_f64 v[88:89], v[36:37], -v[32:33]
	s_mov_b32 s22, 0xe00740e9
	s_mov_b32 s23, 0x3fec55a7
	ds_read_b128 v[40:43], v142 offset:1440
	ds_read_b128 v[44:47], v142 offset:2304
	v_fma_f64 v[50:51], v[76:77], s[22:23], v[116:117]
	v_add_f64 v[2:3], v[48:49], v[2:3]
	v_fma_f64 v[48:49], v[102:103], s[22:23], -v[134:135]
	s_mov_b32 s18, 0x66966769
	s_mov_b32 s19, 0xbfefc445
	v_add_f64 v[86:87], v[36:37], v[32:33]
	v_mul_f64 v[122:123], v[90:91], s[18:19]
	s_waitcnt lgkmcnt(0)
	v_add_f64 v[96:97], v[42:43], -v[46:47]
	v_add_f64 v[104:105], v[38:39], v[34:35]
	v_mul_f64 v[130:131], v[88:89], s[18:19]
	v_add_f64 v[94:95], v[40:41], -v[44:45]
	v_add_f64 v[0:1], v[50:51], v[0:1]
	v_add_f64 v[2:3], v[48:49], v[2:3]
	ds_read_b128 v[52:55], v142 offset:1728
	ds_read_b128 v[48:51], v142 offset:2016
	s_mov_b32 s20, 0xebaa3ed8
	s_mov_b32 s16, 0x4bc48dbf
	;; [unrolled: 1-line block ×4, first 2 shown]
	v_fma_f64 v[56:57], v[86:87], s[20:21], v[122:123]
	v_add_f64 v[92:93], v[40:41], v[44:45]
	v_mul_f64 v[128:129], v[96:97], s[16:17]
	v_fma_f64 v[58:59], v[104:105], s[20:21], -v[130:131]
	v_add_f64 v[110:111], v[42:43], v[46:47]
	v_mul_f64 v[136:137], v[94:95], s[16:17]
	s_waitcnt lgkmcnt(0)
	v_add_f64 v[112:113], v[54:55], -v[50:51]
	v_add_f64 v[98:99], v[52:53], -v[48:49]
	s_mov_b32 s24, 0x93053d00
	s_mov_b32 s30, 0x42a4c3d2
	;; [unrolled: 1-line block ×4, first 2 shown]
	v_add_f64 v[0:1], v[56:57], v[0:1]
	v_fma_f64 v[56:57], v[92:93], s[24:25], v[128:129]
	v_add_f64 v[2:3], v[58:59], v[2:3]
	v_fma_f64 v[58:59], v[110:111], s[24:25], -v[136:137]
	v_add_f64 v[100:101], v[52:53], v[48:49]
	v_mul_f64 v[132:133], v[112:113], s[30:31]
	v_add_f64 v[114:115], v[54:55], v[50:51]
	v_mul_f64 v[138:139], v[98:99], s[30:31]
	s_mov_b32 s28, 0x1ea71119
	s_mov_b32 s29, 0x3fe22d96
	v_add_f64 v[0:1], v[56:57], v[0:1]
	v_add_f64 v[2:3], v[58:59], v[2:3]
	v_cmp_gt_u32_e64 s[0:1], 18, v64
	v_fma_f64 v[56:57], v[100:101], s[28:29], v[132:133]
	v_fma_f64 v[58:59], v[114:115], s[28:29], -v[138:139]
	; wave barrier
	v_add_f64 v[0:1], v[56:57], v[0:1]
	v_add_f64 v[2:3], v[58:59], v[2:3]
	s_and_saveexec_b64 s[14:15], s[0:1]
	s_cbranch_execz .LBB0_13
; %bb.12:
	v_mul_f64 v[56:57], v[108:109], s[24:25]
	v_mul_f64 v[58:59], v[106:107], s[22:23]
	s_mov_b32 s35, 0xbfddbe06
	s_mov_b32 s34, s26
	;; [unrolled: 1-line block ×4, first 2 shown]
	v_mul_f64 v[169:170], v[102:103], s[2:3]
	v_mul_f64 v[181:182], v[68:69], s[0:1]
	v_fma_f64 v[60:61], v[80:81], s[16:17], v[56:57]
	v_fma_f64 v[171:172], v[78:79], s[34:35], v[58:59]
	v_mul_f64 v[177:178], v[104:105], s[28:29]
	v_mul_f64 v[183:184], v[74:75], s[26:27]
	v_fma_f64 v[56:57], v[80:81], s[0:1], v[56:57]
	s_mov_b32 s39, 0xbfea55e2
	v_fma_f64 v[179:180], v[84:85], s[10:11], v[169:170]
	v_fma_f64 v[187:188], v[72:73], s[24:25], v[181:182]
	v_add_f64 v[60:61], v[18:19], v[60:61]
	s_mov_b32 s38, s30
	s_mov_b32 s37, 0xbfe5384d
	;; [unrolled: 1-line block ×3, first 2 shown]
	v_fma_f64 v[185:186], v[88:89], s[38:39], v[177:178]
	v_fma_f64 v[189:190], v[70:71], s[22:23], v[183:184]
	v_fma_f64 v[181:182], v[72:73], s[24:25], -v[181:182]
	v_add_f64 v[187:188], v[16:17], v[187:188]
	v_add_f64 v[60:61], v[171:172], v[60:61]
	v_fma_f64 v[58:59], v[78:79], s[26:27], v[58:59]
	v_add_f64 v[56:57], v[18:19], v[56:57]
	v_mul_f64 v[171:172], v[110:111], s[4:5]
	v_fma_f64 v[183:184], v[70:71], s[22:23], -v[183:184]
	v_fma_f64 v[169:170], v[84:85], s[36:37], v[169:170]
	v_add_f64 v[181:182], v[16:17], v[181:182]
	v_add_f64 v[187:188], v[189:190], v[187:188]
	;; [unrolled: 1-line block ×3, first 2 shown]
	v_mul_f64 v[179:180], v[82:83], s[36:37]
	v_add_f64 v[56:57], v[58:59], v[56:57]
	s_mov_b32 s41, 0x3fedeba7
	s_mov_b32 s40, s6
	v_mul_f64 v[62:63], v[114:115], s[20:21]
	v_fma_f64 v[191:192], v[94:95], s[40:41], v[171:172]
	v_mul_f64 v[189:190], v[96:97], s[6:7]
	v_add_f64 v[60:61], v[185:186], v[60:61]
	v_mul_f64 v[185:186], v[90:91], s[30:31]
	v_fma_f64 v[193:194], v[76:77], s[2:3], v[179:180]
	v_fma_f64 v[179:180], v[76:77], s[2:3], -v[179:180]
	v_add_f64 v[181:182], v[183:184], v[181:182]
	v_fma_f64 v[177:178], v[88:89], s[30:31], v[177:178]
	v_add_f64 v[56:57], v[169:170], v[56:57]
	s_mov_b32 s43, 0x3fefc445
	s_mov_b32 s42, s18
	v_fma_f64 v[195:196], v[86:87], s[28:29], v[185:186]
	v_add_f64 v[58:59], v[193:194], v[187:188]
	v_fma_f64 v[175:176], v[98:99], s[18:19], v[62:63]
	v_mul_f64 v[187:188], v[112:113], s[42:43]
	v_fma_f64 v[193:194], v[92:93], s[4:5], v[189:190]
	v_add_f64 v[60:61], v[191:192], v[60:61]
	v_mul_f64 v[183:184], v[108:109], s[2:3]
	v_fma_f64 v[185:186], v[86:87], s[28:29], -v[185:186]
	v_add_f64 v[179:180], v[179:180], v[181:182]
	v_add_f64 v[58:59], v[195:196], v[58:59]
	v_fma_f64 v[171:172], v[94:95], s[6:7], v[171:172]
	v_add_f64 v[56:57], v[177:178], v[56:57]
	v_fma_f64 v[169:170], v[100:101], s[20:21], v[187:188]
	v_fma_f64 v[181:182], v[92:93], s[4:5], -v[189:190]
	v_fma_f64 v[62:63], v[98:99], s[42:43], v[62:63]
	v_mul_f64 v[191:192], v[110:111], s[22:23]
	v_add_f64 v[179:180], v[185:186], v[179:180]
	v_add_f64 v[177:178], v[193:194], v[58:59]
	;; [unrolled: 1-line block ×3, first 2 shown]
	v_mul_f64 v[175:176], v[106:107], s[20:21]
	v_fma_f64 v[60:61], v[80:81], s[10:11], v[183:184]
	v_add_f64 v[171:172], v[171:172], v[56:57]
	v_fma_f64 v[185:186], v[100:101], s[20:21], -v[187:188]
	v_mul_f64 v[187:188], v[104:105], s[24:25]
	v_add_f64 v[179:180], v[181:182], v[179:180]
	v_add_f64 v[56:57], v[169:170], v[177:178]
	v_mul_f64 v[169:170], v[102:103], s[28:29]
	v_fma_f64 v[177:178], v[78:79], s[18:19], v[175:176]
	v_add_f64 v[60:61], v[18:19], v[60:61]
	v_add_f64 v[62:63], v[62:63], v[171:172]
	v_mul_f64 v[171:172], v[68:69], s[36:37]
	v_fma_f64 v[195:196], v[88:89], s[0:1], v[187:188]
	v_fma_f64 v[183:184], v[80:81], s[36:37], v[183:184]
	v_mul_f64 v[197:198], v[82:83], s[38:39]
	v_fma_f64 v[189:190], v[84:85], s[30:31], v[169:170]
	v_fma_f64 v[175:176], v[78:79], s[42:43], v[175:176]
	v_add_f64 v[177:178], v[177:178], v[60:61]
	v_add_f64 v[60:61], v[185:186], v[179:180]
	v_mul_f64 v[185:186], v[74:75], s[42:43]
	v_fma_f64 v[193:194], v[72:73], s[2:3], v[171:172]
	v_fma_f64 v[171:172], v[72:73], s[2:3], -v[171:172]
	v_add_f64 v[183:184], v[18:19], v[183:184]
	v_fma_f64 v[201:202], v[76:77], s[28:29], v[197:198]
	v_mul_f64 v[149:150], v[108:109], s[4:5]
	v_add_f64 v[177:178], v[189:190], v[177:178]
	v_fma_f64 v[189:190], v[94:95], s[34:35], v[191:192]
	v_fma_f64 v[199:200], v[70:71], s[20:21], v[185:186]
	v_add_f64 v[193:194], v[16:17], v[193:194]
	v_fma_f64 v[185:186], v[70:71], s[20:21], -v[185:186]
	v_add_f64 v[171:172], v[16:17], v[171:172]
	v_fma_f64 v[169:170], v[84:85], s[38:39], v[169:170]
	v_add_f64 v[175:176], v[175:176], v[183:184]
	v_add_f64 v[177:178], v[195:196], v[177:178]
	v_mul_f64 v[195:196], v[90:91], s[16:17]
	v_mul_f64 v[183:184], v[96:97], s[26:27]
	v_add_f64 v[193:194], v[199:200], v[193:194]
	v_mul_f64 v[153:154], v[106:107], s[2:3]
	v_add_f64 v[171:172], v[185:186], v[171:172]
	v_add_f64 v[126:127], v[126:127], v[149:150]
	;; [unrolled: 1-line block ×4, first 2 shown]
	v_fma_f64 v[189:190], v[76:77], s[28:29], -v[197:198]
	v_fma_f64 v[185:186], v[86:87], s[24:25], v[195:196]
	v_add_f64 v[193:194], v[201:202], v[193:194]
	v_mul_f64 v[175:176], v[112:113], s[6:7]
	v_fma_f64 v[149:150], v[86:87], s[24:25], -v[195:196]
	v_mul_f64 v[157:158], v[102:103], s[22:23]
	v_add_f64 v[124:125], v[124:125], v[153:154]
	v_add_f64 v[126:127], v[18:19], v[126:127]
	;; [unrolled: 1-line block ×3, first 2 shown]
	v_fma_f64 v[189:190], v[92:93], s[22:23], v[183:184]
	v_add_f64 v[185:186], v[185:186], v[193:194]
	v_fma_f64 v[153:154], v[92:93], s[22:23], -v[183:184]
	v_mul_f64 v[147:148], v[72:73], s[4:5]
	v_mul_f64 v[161:162], v[104:105], s[20:21]
	v_add_f64 v[134:135], v[134:135], v[157:158]
	v_add_f64 v[157:158], v[124:125], v[126:127]
	;; [unrolled: 1-line block ×3, first 2 shown]
	v_fma_f64 v[171:172], v[100:101], s[4:5], v[175:176]
	v_add_f64 v[183:184], v[189:190], v[185:186]
	v_fma_f64 v[175:176], v[100:101], s[4:5], -v[175:176]
	v_mul_f64 v[151:152], v[70:71], s[2:3]
	v_mul_f64 v[165:166], v[110:111], s[24:25]
	;; [unrolled: 1-line block ×3, first 2 shown]
	v_fma_f64 v[187:188], v[88:89], s[16:17], v[187:188]
	v_add_f64 v[153:154], v[153:154], v[149:150]
	v_add_f64 v[130:131], v[130:131], v[161:162]
	;; [unrolled: 1-line block ×3, first 2 shown]
	v_mul_f64 v[171:172], v[108:109], s[20:21]
	v_add_f64 v[120:121], v[147:148], -v[120:121]
	v_add_f64 v[134:135], v[134:135], v[157:158]
	v_mul_f64 v[155:156], v[76:77], s[22:23]
	v_mul_f64 v[181:182], v[114:115], s[4:5]
	v_add_f64 v[147:148], v[175:176], v[153:154]
	v_mul_f64 v[153:154], v[106:107], s[24:25]
	v_fma_f64 v[191:192], v[94:95], s[26:27], v[191:192]
	v_fma_f64 v[157:158], v[80:81], s[42:43], v[171:172]
	v_add_f64 v[169:170], v[187:188], v[169:170]
	v_add_f64 v[136:137], v[136:137], v[165:166]
	v_add_f64 v[118:119], v[151:152], -v[118:119]
	v_add_f64 v[120:121], v[16:17], v[120:121]
	v_add_f64 v[130:131], v[130:131], v[134:135]
	;; [unrolled: 1-line block ×3, first 2 shown]
	v_mul_f64 v[138:139], v[102:103], s[4:5]
	v_mul_f64 v[151:152], v[68:69], s[18:19]
	v_fma_f64 v[161:162], v[78:79], s[16:17], v[153:154]
	v_add_f64 v[157:158], v[18:19], v[157:158]
	v_mul_f64 v[159:160], v[86:87], s[20:21]
	v_fma_f64 v[179:180], v[98:99], s[40:41], v[181:182]
	v_fma_f64 v[181:182], v[98:99], s[6:7], v[181:182]
	v_add_f64 v[169:170], v[191:192], v[169:170]
	v_add_f64 v[116:117], v[155:156], -v[116:117]
	v_add_f64 v[118:119], v[118:119], v[120:121]
	v_add_f64 v[120:121], v[136:137], v[130:131]
	v_mul_f64 v[130:131], v[104:105], s[22:23]
	v_mul_f64 v[136:137], v[74:75], s[0:1]
	v_fma_f64 v[155:156], v[72:73], s[20:21], v[151:152]
	v_fma_f64 v[165:166], v[84:85], s[6:7], v[138:139]
	v_add_f64 v[157:158], v[161:162], v[157:158]
	v_mul_f64 v[163:164], v[92:93], s[24:25]
	v_add_f64 v[149:150], v[181:182], v[169:170]
	v_add_f64 v[122:123], v[159:160], -v[122:123]
	v_add_f64 v[116:117], v[116:117], v[118:119]
	v_mul_f64 v[159:160], v[110:111], s[28:29]
	v_mul_f64 v[161:162], v[82:83], s[40:41]
	v_fma_f64 v[118:119], v[70:71], s[24:25], v[136:137]
	v_add_f64 v[155:156], v[16:17], v[155:156]
	v_fma_f64 v[169:170], v[88:89], s[34:35], v[130:131]
	v_add_f64 v[157:158], v[165:166], v[157:158]
	v_mul_f64 v[167:168], v[100:101], s[28:29]
	v_add_f64 v[128:129], v[163:164], -v[128:129]
	v_add_f64 v[116:117], v[122:123], v[116:117]
	v_mul_f64 v[163:164], v[114:115], s[2:3]
	v_mul_f64 v[165:166], v[90:91], s[26:27]
	v_fma_f64 v[122:123], v[76:77], s[4:5], v[161:162]
	v_add_f64 v[118:119], v[118:119], v[155:156]
	v_fma_f64 v[155:156], v[94:95], s[30:31], v[159:160]
	v_add_f64 v[157:158], v[169:170], v[157:158]
	v_add_f64 v[132:133], v[167:168], -v[132:133]
	v_add_f64 v[116:117], v[128:129], v[116:117]
	v_mul_f64 v[128:129], v[96:97], s[38:39]
	v_fma_f64 v[167:168], v[86:87], s[22:23], v[165:166]
	v_fma_f64 v[169:170], v[80:81], s[18:19], v[171:172]
	v_add_f64 v[122:123], v[122:123], v[118:119]
	v_fma_f64 v[171:172], v[98:99], s[10:11], v[163:164]
	v_add_f64 v[155:156], v[155:156], v[157:158]
	v_add_f64 v[118:119], v[134:135], v[120:121]
	v_fma_f64 v[134:135], v[78:79], s[0:1], v[153:154]
	v_fma_f64 v[120:121], v[92:93], s[28:29], v[128:129]
	;; [unrolled: 1-line block ×3, first 2 shown]
	v_add_f64 v[153:154], v[18:19], v[169:170]
	v_add_f64 v[167:168], v[167:168], v[122:123]
	v_fma_f64 v[151:152], v[72:73], s[20:21], -v[151:152]
	v_add_f64 v[122:123], v[171:172], v[155:156]
	v_mul_f64 v[155:156], v[108:109], s[28:29]
	v_fma_f64 v[130:131], v[88:89], s[26:27], v[130:131]
	v_fma_f64 v[136:137], v[70:71], s[24:25], -v[136:137]
	v_mul_f64 v[169:170], v[102:103], s[24:25]
	v_add_f64 v[134:135], v[134:135], v[153:154]
	v_add_f64 v[120:121], v[120:121], v[167:168]
	v_fma_f64 v[153:154], v[98:99], s[36:37], v[163:164]
	v_mul_f64 v[163:164], v[106:107], s[4:5]
	v_fma_f64 v[167:168], v[80:81], s[30:31], v[155:156]
	v_add_f64 v[151:152], v[16:17], v[151:152]
	v_add_f64 v[22:23], v[18:19], v[22:23]
	;; [unrolled: 1-line block ×4, first 2 shown]
	v_fma_f64 v[138:139], v[94:95], s[38:39], v[159:160]
	v_mul_f64 v[159:160], v[68:69], s[38:39]
	v_fma_f64 v[171:172], v[78:79], s[40:41], v[163:164]
	v_add_f64 v[167:168], v[18:19], v[167:168]
	v_fma_f64 v[161:162], v[76:77], s[4:5], -v[161:162]
	v_add_f64 v[136:137], v[136:137], v[151:152]
	v_mul_f64 v[151:152], v[74:75], s[6:7]
	v_add_f64 v[130:131], v[130:131], v[134:135]
	v_mul_f64 v[173:174], v[104:105], s[2:3]
	v_fma_f64 v[134:135], v[72:73], s[28:29], v[159:160]
	v_fma_f64 v[175:176], v[84:85], s[16:17], v[169:170]
	v_add_f64 v[167:168], v[171:172], v[167:168]
	v_add_f64 v[22:23], v[22:23], v[30:31]
	;; [unrolled: 1-line block ×4, first 2 shown]
	v_mul_f64 v[157:158], v[112:113], s[36:37]
	v_fma_f64 v[165:166], v[86:87], s[22:23], -v[165:166]
	v_add_f64 v[136:137], v[161:162], v[136:137]
	v_mul_f64 v[161:162], v[82:83], s[0:1]
	v_fma_f64 v[171:172], v[70:71], s[4:5], v[151:152]
	v_add_f64 v[134:135], v[16:17], v[134:135]
	v_mul_f64 v[177:178], v[110:111], s[20:21]
	v_fma_f64 v[179:180], v[88:89], s[36:37], v[173:174]
	v_add_f64 v[167:168], v[175:176], v[167:168]
	v_add_f64 v[22:23], v[22:23], v[26:27]
	;; [unrolled: 1-line block ×4, first 2 shown]
	v_fma_f64 v[132:133], v[100:101], s[2:3], v[157:158]
	v_fma_f64 v[128:129], v[92:93], s[28:29], -v[128:129]
	v_add_f64 v[136:137], v[165:166], v[136:137]
	v_mul_f64 v[165:166], v[90:91], s[10:11]
	v_fma_f64 v[175:176], v[76:77], s[24:25], v[161:162]
	v_add_f64 v[134:135], v[171:172], v[134:135]
	v_mul_f64 v[171:172], v[114:115], s[22:23]
	v_fma_f64 v[181:182], v[94:95], s[18:19], v[177:178]
	v_add_f64 v[167:168], v[179:180], v[167:168]
	v_add_f64 v[22:23], v[22:23], v[38:39]
	;; [unrolled: 1-line block ×4, first 2 shown]
	v_fma_f64 v[179:180], v[86:87], s[2:3], v[165:166]
	v_add_f64 v[134:135], v[175:176], v[134:135]
	v_add_f64 v[128:129], v[128:129], v[136:137]
	v_fma_f64 v[136:137], v[98:99], s[34:35], v[171:172]
	v_add_f64 v[167:168], v[181:182], v[167:168]
	v_add_f64 v[120:121], v[132:133], v[120:121]
	;; [unrolled: 3-line block ×3, first 2 shown]
	v_add_f64 v[179:180], v[179:180], v[134:135]
	v_add_f64 v[130:131], v[153:154], v[130:131]
	v_fma_f64 v[153:154], v[72:73], s[28:29], -v[159:160]
	v_add_f64 v[134:135], v[136:137], v[167:168]
	v_fma_f64 v[136:137], v[78:79], s[6:7], v[163:164]
	v_add_f64 v[132:133], v[18:19], v[132:133]
	v_mul_f64 v[108:109], v[108:109], s[22:23]
	v_mul_f64 v[40:41], v[68:69], s[34:35]
	v_add_f64 v[22:23], v[22:23], v[54:55]
	v_add_f64 v[36:37], v[36:37], v[52:53]
	v_fma_f64 v[163:164], v[98:99], s[26:27], v[171:172]
	v_fma_f64 v[169:170], v[84:85], s[0:1], v[169:170]
	v_mul_f64 v[106:107], v[106:107], s[28:29]
	v_add_f64 v[132:133], v[136:137], v[132:133]
	v_fma_f64 v[136:137], v[70:71], s[4:5], -v[151:152]
	v_add_f64 v[151:152], v[16:17], v[153:154]
	v_fma_f64 v[171:172], v[80:81], s[26:27], v[108:109]
	v_fma_f64 v[80:81], v[80:81], s[34:35], v[108:109]
	v_mul_f64 v[74:75], v[74:75], s[38:39]
	v_fma_f64 v[52:53], v[72:73], s[22:23], -v[40:41]
	v_fma_f64 v[40:41], v[72:73], s[22:23], v[40:41]
	v_add_f64 v[22:23], v[22:23], v[50:51]
	v_add_f64 v[36:37], v[36:37], v[48:49]
	v_fma_f64 v[153:154], v[88:89], s[10:11], v[173:174]
	v_add_f64 v[132:133], v[169:170], v[132:133]
	v_fma_f64 v[161:162], v[76:77], s[24:25], -v[161:162]
	v_add_f64 v[136:137], v[136:137], v[151:152]
	v_mul_f64 v[102:103], v[102:103], s[20:21]
	v_fma_f64 v[151:152], v[78:79], s[30:31], v[106:107]
	v_add_f64 v[169:170], v[18:19], v[171:172]
	v_mul_f64 v[54:55], v[82:83], s[18:19]
	v_fma_f64 v[72:73], v[78:79], s[38:39], v[106:107]
	v_add_f64 v[18:19], v[18:19], v[80:81]
	v_fma_f64 v[78:79], v[70:71], s[28:29], -v[74:75]
	v_add_f64 v[48:49], v[16:17], v[52:53]
	v_fma_f64 v[50:51], v[70:71], s[28:29], v[74:75]
	v_add_f64 v[16:17], v[16:17], v[40:41]
	v_add_f64 v[22:23], v[22:23], v[46:47]
	;; [unrolled: 1-line block ×3, first 2 shown]
	v_fma_f64 v[138:139], v[100:101], s[2:3], -v[157:158]
	v_mul_f64 v[157:158], v[96:97], s[42:43]
	v_fma_f64 v[167:168], v[94:95], s[42:43], v[177:178]
	v_add_f64 v[28:29], v[153:154], v[132:133]
	v_fma_f64 v[30:31], v[86:87], s[2:3], -v[165:166]
	v_add_f64 v[132:133], v[161:162], v[136:137]
	v_mul_f64 v[104:105], v[104:105], s[4:5]
	v_mul_f64 v[90:91], v[90:91], s[6:7]
	v_fma_f64 v[40:41], v[84:85], s[18:19], v[102:103]
	v_add_f64 v[18:19], v[72:73], v[18:19]
	v_fma_f64 v[52:53], v[76:77], s[20:21], -v[54:55]
	v_add_f64 v[44:45], v[78:79], v[48:49]
	v_fma_f64 v[136:137], v[84:85], s[42:43], v[102:103]
	v_add_f64 v[151:152], v[151:152], v[169:170]
	v_fma_f64 v[46:47], v[76:77], s[20:21], v[54:55]
	v_add_f64 v[16:17], v[50:51], v[16:17]
	v_add_f64 v[22:23], v[22:23], v[34:35]
	;; [unrolled: 1-line block ×4, first 2 shown]
	v_fma_f64 v[26:27], v[92:93], s[20:21], -v[157:158]
	v_add_f64 v[28:29], v[30:31], v[132:133]
	v_mul_f64 v[30:31], v[110:111], s[2:3]
	v_mul_f64 v[68:69], v[96:97], s[36:37]
	v_fma_f64 v[48:49], v[88:89], s[6:7], v[104:105]
	v_add_f64 v[18:19], v[40:41], v[18:19]
	v_fma_f64 v[40:41], v[86:87], s[4:5], -v[90:91]
	v_add_f64 v[34:35], v[52:53], v[44:45]
	v_fma_f64 v[110:111], v[88:89], s[40:41], v[104:105]
	v_add_f64 v[132:133], v[136:137], v[151:152]
	v_fma_f64 v[36:37], v[86:87], s[4:5], v[90:91]
	v_add_f64 v[16:17], v[46:47], v[16:17]
	v_add_f64 v[14:15], v[22:23], v[14:15]
	v_add_f64 v[12:13], v[32:33], v[12:13]
	v_add_f64 v[26:27], v[26:27], v[28:29]
	v_mul_f64 v[28:29], v[114:115], s[24:25]
	v_fma_f64 v[38:39], v[94:95], s[10:11], v[30:31]
	v_mul_f64 v[42:43], v[112:113], s[0:1]
	v_fma_f64 v[30:31], v[94:95], s[36:37], v[30:31]
	v_add_f64 v[18:19], v[48:49], v[18:19]
	v_fma_f64 v[44:45], v[92:93], s[2:3], -v[68:69]
	v_add_f64 v[22:23], v[40:41], v[34:35]
	v_mul_f64 v[155:156], v[112:113], s[26:27]
	v_fma_f64 v[175:176], v[92:93], s[20:21], v[157:158]
	v_add_f64 v[110:111], v[110:111], v[132:133]
	v_fma_f64 v[32:33], v[92:93], s[2:3], v[68:69]
	v_add_f64 v[16:17], v[36:37], v[16:17]
	v_add_f64 v[10:11], v[14:15], v[10:11]
	;; [unrolled: 1-line block ×3, first 2 shown]
	v_fma_f64 v[34:35], v[98:99], s[0:1], v[28:29]
	v_add_f64 v[18:19], v[30:31], v[18:19]
	v_fma_f64 v[30:31], v[100:101], s[24:25], -v[42:43]
	v_add_f64 v[22:23], v[44:45], v[22:23]
	v_add_f64 v[20:21], v[163:164], v[24:25]
	v_fma_f64 v[24:25], v[100:101], s[22:23], -v[155:156]
	v_add_f64 v[128:129], v[138:139], v[128:129]
	v_fma_f64 v[138:139], v[100:101], s[22:23], v[155:156]
	v_add_f64 v[159:160], v[175:176], v[179:180]
	v_fma_f64 v[28:29], v[98:99], s[16:17], v[28:29]
	;; [unrolled: 2-line block ×3, first 2 shown]
	v_add_f64 v[32:33], v[32:33], v[16:17]
	v_add_f64 v[12:13], v[10:11], v[6:7]
	;; [unrolled: 1-line block ×6, first 2 shown]
	v_mul_u32_u24_e32 v4, 0xc0, v64
	v_add3_u32 v4, v145, v4, v146
	v_add_f64 v[132:133], v[138:139], v[159:160]
	v_add_f64 v[16:17], v[28:29], v[36:37]
	;; [unrolled: 1-line block ×3, first 2 shown]
	ds_write_b128 v4, v[10:13]
	ds_write_b128 v4, v[6:9] offset:16
	ds_write_b128 v4, v[18:21] offset:32
	ds_write_b128 v4, v[128:131] offset:48
	ds_write_b128 v4, v[116:119] offset:64
	ds_write_b128 v4, v[147:150] offset:80
	ds_write_b128 v4, v[60:63] offset:96
	ds_write_b128 v4, v[56:59] offset:112
	ds_write_b128 v4, v[124:127] offset:128
	ds_write_b128 v4, v[0:3] offset:144
	ds_write_b128 v4, v[120:123] offset:160
	ds_write_b128 v4, v[132:135] offset:176
	ds_write_b128 v4, v[14:17] offset:192
.LBB0_13:
	s_or_b64 exec, exec, s[14:15]
	v_add_u32_e32 v40, -13, v64
	v_cmp_gt_u32_e64 s[0:1], 13, v64
	v_cndmask_b32_e64 v63, v40, v64, s[0:1]
	v_lshlrev_b32_e32 v41, 3, v63
	v_mov_b32_e32 v42, 0
	v_lshlrev_b64 v[4:5], 4, v[41:42]
	v_mov_b32_e32 v6, s9
	v_add_co_u32_e64 v36, s[2:3], s8, v4
	v_addc_co_u32_e64 v37, s[2:3], v6, v5, s[2:3]
	s_waitcnt lgkmcnt(0)
	; wave barrier
	s_waitcnt lgkmcnt(0)
	global_load_dwordx4 v[4:7], v[36:37], off
	global_load_dwordx4 v[8:11], v[36:37], off offset:16
	global_load_dwordx4 v[12:15], v[36:37], off offset:32
	global_load_dwordx4 v[16:19], v[36:37], off offset:48
	global_load_dwordx4 v[20:23], v[36:37], off offset:64
	global_load_dwordx4 v[24:27], v[36:37], off offset:80
	global_load_dwordx4 v[28:31], v[36:37], off offset:96
	global_load_dwordx4 v[32:35], v[36:37], off offset:112
	ds_read_b128 v[36:39], v140
	ds_read_b128 v[43:46], v142 offset:416
	ds_read_b128 v[47:50], v142 offset:832
	;; [unrolled: 1-line block ×8, first 2 shown]
	s_mov_b32 s20, 0xa2cf5039
	s_mov_b32 s5, 0x3fe491b7
	;; [unrolled: 1-line block ×16, first 2 shown]
	v_mov_b32_e32 v41, 0x750
	s_waitcnt lgkmcnt(0)
	; wave barrier
	s_waitcnt vmcnt(7) lgkmcnt(0)
	v_mul_f64 v[80:81], v[45:46], v[6:7]
	v_mul_f64 v[6:7], v[43:44], v[6:7]
	s_waitcnt vmcnt(6)
	v_mul_f64 v[82:83], v[49:50], v[10:11]
	v_mul_f64 v[10:11], v[47:48], v[10:11]
	s_waitcnt vmcnt(5)
	;; [unrolled: 3-line block ×4, first 2 shown]
	v_mul_f64 v[94:95], v[78:79], v[34:35]
	v_mul_f64 v[34:35], v[76:77], v[34:35]
	v_mul_f64 v[88:89], v[61:62], v[22:23]
	v_mul_f64 v[22:23], v[59:60], v[22:23]
	v_mul_f64 v[90:91], v[70:71], v[26:27]
	v_mul_f64 v[26:27], v[68:69], v[26:27]
	v_mul_f64 v[92:93], v[74:75], v[30:31]
	v_mul_f64 v[30:31], v[72:73], v[30:31]
	v_fma_f64 v[43:44], v[43:44], v[4:5], -v[80:81]
	v_fma_f64 v[4:5], v[45:46], v[4:5], v[6:7]
	v_fma_f64 v[6:7], v[47:48], v[8:9], -v[82:83]
	v_fma_f64 v[8:9], v[49:50], v[8:9], v[10:11]
	;; [unrolled: 2-line block ×8, first 2 shown]
	v_add_f64 v[22:23], v[43:44], v[14:15]
	v_add_f64 v[34:35], v[4:5], v[18:19]
	v_add_f64 v[43:44], v[43:44], -v[14:15]
	v_add_f64 v[18:19], v[4:5], -v[18:19]
	v_add_f64 v[47:48], v[6:7], v[32:33]
	v_add_f64 v[49:50], v[8:9], v[28:29]
	;; [unrolled: 1-line block ×3, first 2 shown]
	v_add_f64 v[4:5], v[6:7], -v[32:33]
	v_add_f64 v[6:7], v[8:9], -v[28:29]
	v_add_f64 v[28:29], v[10:11], -v[30:31]
	v_mul_f64 v[30:31], v[43:44], s[4:5]
	v_mul_f64 v[32:33], v[18:19], s[4:5]
	v_fma_f64 v[55:56], v[22:23], s[20:21], v[36:37]
	v_fma_f64 v[57:58], v[34:35], s[20:21], v[38:39]
	v_add_f64 v[53:54], v[12:13], v[24:25]
	v_add_f64 v[24:25], v[12:13], -v[24:25]
	v_add_f64 v[8:9], v[45:46], -v[26:27]
	v_add_f64 v[12:13], v[45:46], v[26:27]
	v_add_f64 v[14:15], v[16:17], v[20:21]
	v_add_f64 v[10:11], v[16:17], -v[20:21]
	v_fma_f64 v[30:31], v[4:5], s[14:15], v[30:31]
	v_fma_f64 v[32:33], v[6:7], s[14:15], v[32:33]
	;; [unrolled: 1-line block ×4, first 2 shown]
	s_mov_b32 s5, 0xbfe491b7
	v_fma_f64 v[59:60], v[12:13], s[20:21], v[36:37]
	v_fma_f64 v[61:62], v[14:15], s[20:21], v[38:39]
	v_mul_f64 v[88:89], v[8:9], s[4:5]
	v_mul_f64 v[90:91], v[10:11], s[4:5]
	v_fma_f64 v[30:31], v[28:29], s[2:3], v[30:31]
	v_fma_f64 v[32:33], v[24:25], s[2:3], v[32:33]
	v_fma_f64 v[55:56], v[51:52], -0.5, v[55:56]
	v_fma_f64 v[57:58], v[53:54], -0.5, v[57:58]
	v_fma_f64 v[59:60], v[22:23], s[16:17], v[59:60]
	v_fma_f64 v[61:62], v[34:35], s[16:17], v[61:62]
	v_fma_f64 v[88:89], v[43:44], s[14:15], v[88:89]
	v_fma_f64 v[90:91], v[18:19], s[14:15], v[90:91]
	v_add_f64 v[68:69], v[8:9], v[43:44]
	v_add_f64 v[70:71], v[10:11], v[18:19]
	v_mul_f64 v[80:81], v[8:9], s[14:15]
	v_mul_f64 v[82:83], v[10:11], s[14:15]
	v_fma_f64 v[30:31], v[8:9], s[6:7], v[30:31]
	v_fma_f64 v[32:33], v[10:11], s[6:7], v[32:33]
	;; [unrolled: 1-line block ×6, first 2 shown]
	v_fma_f64 v[59:60], v[51:52], -0.5, v[59:60]
	v_fma_f64 v[61:62], v[53:54], -0.5, v[61:62]
	v_fma_f64 v[88:89], v[28:29], s[18:19], v[88:89]
	v_fma_f64 v[90:91], v[24:25], s[18:19], v[90:91]
	v_add_f64 v[76:77], v[47:48], v[22:23]
	v_add_f64 v[78:79], v[49:50], v[34:35]
	;; [unrolled: 1-line block ×3, first 2 shown]
	v_add_f64 v[10:11], v[10:11], -v[30:31]
	v_fma_f64 v[80:81], v[4:5], s[4:5], -v[80:81]
	v_fma_f64 v[82:83], v[6:7], s[4:5], -v[82:83]
	v_fma_f64 v[47:48], v[47:48], s[10:11], v[59:60]
	v_fma_f64 v[49:50], v[49:50], s[10:11], v[61:62]
	v_fma_f64 v[59:60], v[6:7], s[6:7], v[90:91]
	v_fma_f64 v[61:62], v[4:5], s[6:7], v[88:89]
	v_fma_f64 v[84:85], v[12:13], s[16:17], v[84:85]
	v_fma_f64 v[86:87], v[14:15], s[16:17], v[86:87]
	v_add_f64 v[72:73], v[36:37], v[51:52]
	v_add_f64 v[74:75], v[38:39], v[53:54]
	v_add_f64 v[68:69], v[68:69], -v[4:5]
	v_add_f64 v[70:71], v[70:71], -v[6:7]
	v_add_f64 v[55:56], v[12:13], v[76:77]
	v_add_f64 v[57:58], v[14:15], v[78:79]
	v_fma_f64 v[4:5], v[32:33], -2.0, v[8:9]
	v_fma_f64 v[6:7], v[30:31], 2.0, v[10:11]
	v_fma_f64 v[28:29], v[28:29], s[2:3], v[80:81]
	v_fma_f64 v[24:25], v[24:25], s[2:3], v[82:83]
	v_add_f64 v[30:31], v[51:52], v[76:77]
	v_add_f64 v[32:33], v[53:54], v[78:79]
	;; [unrolled: 1-line block ×3, first 2 shown]
	v_add_f64 v[14:15], v[49:50], -v[61:62]
	v_fma_f64 v[47:48], v[51:52], -0.5, v[84:85]
	v_fma_f64 v[49:50], v[53:54], -0.5, v[86:87]
	;; [unrolled: 1-line block ×4, first 2 shown]
	v_fma_f64 v[43:44], v[43:44], s[6:7], v[28:29]
	v_fma_f64 v[55:56], v[18:19], s[6:7], v[24:25]
	v_add_f64 v[24:25], v[45:46], v[30:31]
	v_add_f64 v[28:29], v[16:17], v[32:33]
	v_fma_f64 v[22:23], v[22:23], s[10:11], v[47:48]
	v_fma_f64 v[30:31], v[34:35], s[10:11], v[49:50]
	v_mul_f64 v[32:33], v[68:69], s[2:3]
	v_mul_f64 v[34:35], v[70:71], s[2:3]
	v_fma_f64 v[16:17], v[70:71], s[2:3], v[51:52]
	v_fma_f64 v[18:19], v[68:69], s[18:19], v[53:54]
	v_add_f64 v[45:46], v[26:27], v[24:25]
	v_add_f64 v[47:48], v[20:21], v[28:29]
	v_add_f64 v[20:21], v[55:56], v[22:23]
	v_add_f64 v[22:23], v[30:31], -v[43:44]
	v_cmp_lt_u32_e64 s[2:3], 12, v64
	v_cndmask_b32_e64 v41, 0, v41, s[2:3]
	v_fma_f64 v[28:29], v[34:35], -2.0, v[16:17]
	v_fma_f64 v[30:31], v[32:33], 2.0, v[18:19]
	v_add_f64 v[32:33], v[36:37], v[45:46]
	v_add_f64 v[34:35], v[38:39], v[47:48]
	v_fma_f64 v[36:37], v[55:56], -2.0, v[20:21]
	v_fma_f64 v[38:39], v[43:44], 2.0, v[22:23]
	v_add_u32_e32 v41, 0, v41
	v_lshlrev_b32_e32 v43, 4, v63
	v_fma_f64 v[24:25], v[59:60], -2.0, v[12:13]
	v_fma_f64 v[26:27], v[61:62], 2.0, v[14:15]
	v_add3_u32 v41, v41, v43, v146
	ds_write_b128 v41, v[32:35]
	ds_write_b128 v41, v[8:11] offset:208
	ds_write_b128 v41, v[12:15] offset:416
	;; [unrolled: 1-line block ×8, first 2 shown]
	s_waitcnt lgkmcnt(0)
	; wave barrier
	s_waitcnt lgkmcnt(0)
	ds_read_b128 v[8:11], v140
	ds_read_b128 v[12:15], v142 offset:416
	ds_read_b128 v[28:31], v142 offset:1872
	;; [unrolled: 1-line block ×7, first 2 shown]
	s_and_saveexec_b64 s[2:3], s[0:1]
	s_cbranch_execz .LBB0_15
; %bb.14:
	ds_read_b128 v[4:7], v142 offset:1664
	ds_read_b128 v[0:3], v142 offset:3536
	v_add_u32_e32 v40, 0x68, v64
.LBB0_15:
	s_or_b64 exec, exec, s[2:3]
	v_mov_b32_e32 v65, v42
	v_lshlrev_b64 v[42:43], 4, v[64:65]
	v_mov_b32_e32 v41, s9
	v_add_co_u32_e64 v44, s[2:3], s8, v42
	v_addc_co_u32_e64 v45, s[2:3], v41, v43, s[2:3]
	global_load_dwordx4 v[46:49], v[44:45], off offset:1664
	global_load_dwordx4 v[50:53], v[44:45], off offset:2080
	;; [unrolled: 1-line block ×4, first 2 shown]
	v_lshl_add_u32 v41, v144, 4, v145
	s_waitcnt lgkmcnt(0)
	; wave barrier
	s_waitcnt vmcnt(3) lgkmcnt(0)
	v_mul_f64 v[62:63], v[30:31], v[48:49]
	v_mul_f64 v[48:49], v[28:29], v[48:49]
	s_waitcnt vmcnt(2)
	v_mul_f64 v[68:69], v[26:27], v[52:53]
	v_mul_f64 v[52:53], v[24:25], v[52:53]
	s_waitcnt vmcnt(1)
	;; [unrolled: 3-line block ×3, first 2 shown]
	v_mul_f64 v[72:73], v[34:35], v[60:61]
	v_mul_f64 v[60:61], v[32:33], v[60:61]
	v_fma_f64 v[28:29], v[28:29], v[46:47], -v[62:63]
	v_fma_f64 v[30:31], v[30:31], v[46:47], v[48:49]
	v_fma_f64 v[46:47], v[24:25], v[50:51], -v[68:69]
	v_fma_f64 v[48:49], v[26:27], v[50:51], v[52:53]
	;; [unrolled: 2-line block ×4, first 2 shown]
	v_add_f64 v[24:25], v[8:9], -v[28:29]
	v_add_f64 v[26:27], v[10:11], -v[30:31]
	;; [unrolled: 1-line block ×8, first 2 shown]
	v_fma_f64 v[8:9], v[8:9], 2.0, -v[24:25]
	v_fma_f64 v[10:11], v[10:11], 2.0, -v[26:27]
	;; [unrolled: 1-line block ×8, first 2 shown]
	ds_write_b128 v142, v[24:27] offset:1872
	ds_write_b128 v41, v[28:31] offset:2288
	;; [unrolled: 1-line block ×3, first 2 shown]
	ds_write_b128 v142, v[8:11]
	ds_write_b128 v142, v[12:15] offset:416
	ds_write_b128 v142, v[16:19] offset:832
	;; [unrolled: 1-line block ×4, first 2 shown]
	s_and_saveexec_b64 s[4:5], s[0:1]
	s_cbranch_execz .LBB0_17
; %bb.16:
	v_mov_b32_e32 v41, 0
	v_lshlrev_b64 v[8:9], 4, v[40:41]
	v_mov_b32_e32 v10, s9
	v_add_co_u32_e64 v8, s[2:3], s8, v8
	v_addc_co_u32_e64 v9, s[2:3], v10, v9, s[2:3]
	global_load_dwordx4 v[8:11], v[8:9], off offset:1664
	s_waitcnt vmcnt(0)
	v_mul_f64 v[12:13], v[0:1], v[10:11]
	v_mul_f64 v[10:11], v[2:3], v[10:11]
	v_fma_f64 v[2:3], v[2:3], v[8:9], v[12:13]
	v_fma_f64 v[0:1], v[0:1], v[8:9], -v[10:11]
	v_add_f64 v[2:3], v[6:7], -v[2:3]
	v_add_f64 v[0:1], v[4:5], -v[0:1]
	v_fma_f64 v[6:7], v[6:7], 2.0, -v[2:3]
	v_fma_f64 v[4:5], v[4:5], 2.0, -v[0:1]
	ds_write_b128 v142, v[4:7] offset:1664
	ds_write_b128 v142, v[0:3] offset:3536
.LBB0_17:
	s_or_b64 exec, exec, s[4:5]
	s_waitcnt lgkmcnt(0)
	; wave barrier
	s_waitcnt lgkmcnt(0)
	ds_read_b128 v[8:11], v140
	v_sub_u32_e32 v12, v143, v141
	v_cmp_ne_u32_e64 s[2:3], 0, v64
                                        ; implicit-def: $vgpr6_vgpr7
                                        ; implicit-def: $vgpr2_vgpr3
	s_and_saveexec_b64 s[4:5], s[2:3]
	s_xor_b64 s[2:3], exec, s[4:5]
	s_cbranch_execz .LBB0_19
; %bb.18:
	global_load_dwordx4 v[13:16], v[44:45], off offset:3536
	ds_read_b128 v[0:3], v12 offset:3744
                                        ; implicit-def: $vgpr143
	s_waitcnt lgkmcnt(0)
	v_add_f64 v[4:5], v[8:9], -v[0:1]
	v_add_f64 v[6:7], v[10:11], v[2:3]
	v_add_f64 v[2:3], v[10:11], -v[2:3]
	v_add_f64 v[0:1], v[8:9], v[0:1]
	v_mul_f64 v[10:11], v[4:5], 0.5
	v_mul_f64 v[4:5], v[6:7], 0.5
	;; [unrolled: 1-line block ×3, first 2 shown]
	s_waitcnt vmcnt(0)
	v_mul_f64 v[6:7], v[10:11], v[15:16]
	v_fma_f64 v[8:9], v[4:5], v[15:16], v[2:3]
	v_fma_f64 v[15:16], v[4:5], v[15:16], -v[2:3]
	v_fma_f64 v[17:18], v[0:1], 0.5, v[6:7]
	v_fma_f64 v[6:7], v[0:1], 0.5, -v[6:7]
	v_fma_f64 v[2:3], -v[13:14], v[10:11], v[8:9]
                                        ; implicit-def: $vgpr8_vgpr9
	v_fma_f64 v[0:1], v[4:5], v[13:14], v[17:18]
	v_fma_f64 v[4:5], -v[4:5], v[13:14], v[6:7]
	v_fma_f64 v[6:7], -v[13:14], v[10:11], v[15:16]
.LBB0_19:
	s_andn2_saveexec_b64 s[2:3], s[2:3]
	s_cbranch_execz .LBB0_21
; %bb.20:
	s_waitcnt lgkmcnt(0)
	v_add_f64 v[0:1], v[8:9], v[10:11]
	ds_read_b64 v[6:7], v143 offset:1880
	v_add_f64 v[4:5], v[8:9], -v[10:11]
	v_mov_b32_e32 v2, 0
	v_mov_b32_e32 v3, 0
	s_waitcnt lgkmcnt(0)
	v_xor_b32_e32 v7, 0x80000000, v7
	ds_write_b64 v143, v[6:7] offset:1880
	v_mov_b32_e32 v7, v3
	v_mov_b32_e32 v6, v2
.LBB0_21:
	s_or_b64 exec, exec, s[2:3]
	s_add_u32 s2, s8, 0xdd0
	s_addc_u32 s3, s9, 0
	s_waitcnt lgkmcnt(0)
	v_mov_b32_e32 v9, s3
	v_add_co_u32_e64 v8, s[2:3], s2, v42
	v_addc_co_u32_e64 v9, s[2:3], v9, v43, s[2:3]
	global_load_dwordx4 v[13:16], v[8:9], off offset:416
	global_load_dwordx4 v[17:20], v[8:9], off offset:832
	ds_write_b128 v140, v[0:3]
	ds_write_b128 v12, v[4:7] offset:3744
	ds_read_b128 v[0:3], v140 offset:416
	ds_read_b128 v[4:7], v12 offset:3328
	s_waitcnt lgkmcnt(0)
	v_add_f64 v[10:11], v[0:1], -v[4:5]
	v_add_f64 v[21:22], v[2:3], v[6:7]
	v_add_f64 v[2:3], v[2:3], -v[6:7]
	v_add_f64 v[0:1], v[0:1], v[4:5]
	v_mul_f64 v[10:11], v[10:11], 0.5
	v_mul_f64 v[21:22], v[21:22], 0.5
	;; [unrolled: 1-line block ×3, first 2 shown]
	s_waitcnt vmcnt(1)
	v_mul_f64 v[4:5], v[10:11], v[15:16]
	v_fma_f64 v[6:7], v[21:22], v[15:16], v[2:3]
	v_fma_f64 v[15:16], v[21:22], v[15:16], -v[2:3]
	v_fma_f64 v[23:24], v[0:1], 0.5, v[4:5]
	v_fma_f64 v[25:26], v[0:1], 0.5, -v[4:5]
	global_load_dwordx4 v[0:3], v[8:9], off offset:1248
	v_fma_f64 v[6:7], -v[13:14], v[10:11], v[6:7]
	v_fma_f64 v[15:16], -v[13:14], v[10:11], v[15:16]
	v_fma_f64 v[4:5], v[21:22], v[13:14], v[23:24]
	v_fma_f64 v[13:14], -v[21:22], v[13:14], v[25:26]
	ds_write_b128 v140, v[4:7] offset:416
	ds_write_b128 v12, v[13:16] offset:3328
	ds_read_b128 v[4:7], v140 offset:832
	ds_read_b128 v[13:16], v12 offset:2912
	s_waitcnt lgkmcnt(0)
	v_add_f64 v[10:11], v[4:5], -v[13:14]
	v_add_f64 v[21:22], v[6:7], v[15:16]
	v_add_f64 v[6:7], v[6:7], -v[15:16]
	v_add_f64 v[4:5], v[4:5], v[13:14]
	v_mul_f64 v[10:11], v[10:11], 0.5
	v_mul_f64 v[21:22], v[21:22], 0.5
	;; [unrolled: 1-line block ×3, first 2 shown]
	s_waitcnt vmcnt(1)
	v_mul_f64 v[13:14], v[10:11], v[19:20]
	v_fma_f64 v[15:16], v[21:22], v[19:20], v[6:7]
	v_fma_f64 v[19:20], v[21:22], v[19:20], -v[6:7]
	v_fma_f64 v[23:24], v[4:5], 0.5, v[13:14]
	v_fma_f64 v[13:14], v[4:5], 0.5, -v[13:14]
	v_fma_f64 v[6:7], -v[17:18], v[10:11], v[15:16]
	v_fma_f64 v[15:16], -v[17:18], v[10:11], v[19:20]
	v_fma_f64 v[4:5], v[21:22], v[17:18], v[23:24]
	v_fma_f64 v[13:14], -v[21:22], v[17:18], v[13:14]
	ds_write_b128 v140, v[4:7] offset:832
	ds_write_b128 v12, v[13:16] offset:2912
	ds_read_b128 v[4:7], v140 offset:1248
	ds_read_b128 v[13:16], v12 offset:2496
	s_waitcnt lgkmcnt(0)
	v_add_f64 v[10:11], v[4:5], -v[13:14]
	v_add_f64 v[17:18], v[6:7], v[15:16]
	v_add_f64 v[6:7], v[6:7], -v[15:16]
	v_add_f64 v[4:5], v[4:5], v[13:14]
	v_mul_f64 v[10:11], v[10:11], 0.5
	v_mul_f64 v[17:18], v[17:18], 0.5
	;; [unrolled: 1-line block ×3, first 2 shown]
	s_waitcnt vmcnt(0)
	v_mul_f64 v[13:14], v[10:11], v[2:3]
	v_fma_f64 v[15:16], v[17:18], v[2:3], v[6:7]
	v_fma_f64 v[2:3], v[17:18], v[2:3], -v[6:7]
	v_fma_f64 v[6:7], v[4:5], 0.5, v[13:14]
	v_fma_f64 v[13:14], v[4:5], 0.5, -v[13:14]
	v_fma_f64 v[4:5], -v[0:1], v[10:11], v[15:16]
	v_fma_f64 v[15:16], -v[0:1], v[10:11], v[2:3]
	v_fma_f64 v[2:3], v[17:18], v[0:1], v[6:7]
	v_fma_f64 v[13:14], -v[17:18], v[0:1], v[13:14]
	ds_write_b128 v140, v[2:5] offset:1248
	ds_write_b128 v12, v[13:16] offset:2496
	s_and_saveexec_b64 s[2:3], s[0:1]
	s_cbranch_execz .LBB0_23
; %bb.22:
	global_load_dwordx4 v[0:3], v[8:9], off offset:1664
	ds_read_b128 v[4:7], v140 offset:1664
	ds_read_b128 v[8:11], v12 offset:2080
	s_waitcnt lgkmcnt(0)
	v_add_f64 v[13:14], v[4:5], -v[8:9]
	v_add_f64 v[15:16], v[6:7], v[10:11]
	v_add_f64 v[6:7], v[6:7], -v[10:11]
	v_add_f64 v[4:5], v[4:5], v[8:9]
	v_mul_f64 v[10:11], v[13:14], 0.5
	v_mul_f64 v[13:14], v[15:16], 0.5
	;; [unrolled: 1-line block ×3, first 2 shown]
	s_waitcnt vmcnt(0)
	v_mul_f64 v[8:9], v[10:11], v[2:3]
	v_fma_f64 v[15:16], v[13:14], v[2:3], v[6:7]
	v_fma_f64 v[2:3], v[13:14], v[2:3], -v[6:7]
	v_fma_f64 v[6:7], v[4:5], 0.5, v[8:9]
	v_fma_f64 v[17:18], v[4:5], 0.5, -v[8:9]
	v_fma_f64 v[4:5], -v[0:1], v[10:11], v[15:16]
	v_fma_f64 v[8:9], -v[0:1], v[10:11], v[2:3]
	v_fma_f64 v[2:3], v[13:14], v[0:1], v[6:7]
	v_fma_f64 v[6:7], -v[13:14], v[0:1], v[17:18]
	ds_write_b128 v140, v[2:5] offset:1664
	ds_write_b128 v12, v[6:9] offset:2080
.LBB0_23:
	s_or_b64 exec, exec, s[2:3]
	s_waitcnt lgkmcnt(0)
	; wave barrier
	s_waitcnt lgkmcnt(0)
	s_and_saveexec_b64 s[0:1], vcc
	s_cbranch_execz .LBB0_26
; %bb.24:
	ds_read_b128 v[2:5], v140
	ds_read_b128 v[6:9], v140 offset:416
	ds_read_b128 v[10:13], v140 offset:832
	;; [unrolled: 1-line block ×3, first 2 shown]
	v_mov_b32_e32 v1, s13
	v_add_co_u32_e32 v0, vcc, s12, v66
	v_addc_co_u32_e32 v1, vcc, v1, v67, vcc
	v_add_co_u32_e32 v22, vcc, v0, v42
	v_addc_co_u32_e32 v23, vcc, v1, v43, vcc
	s_waitcnt lgkmcnt(3)
	global_store_dwordx4 v[22:23], v[2:5], off
	s_waitcnt lgkmcnt(2)
	global_store_dwordx4 v[22:23], v[6:9], off offset:416
	s_waitcnt lgkmcnt(1)
	global_store_dwordx4 v[22:23], v[10:13], off offset:832
	;; [unrolled: 2-line block ×3, first 2 shown]
	ds_read_b128 v[2:5], v140 offset:1664
	ds_read_b128 v[6:9], v140 offset:2080
	ds_read_b128 v[10:13], v140 offset:2496
	ds_read_b128 v[14:17], v140 offset:2912
	ds_read_b128 v[18:21], v140 offset:3328
	v_cmp_eq_u32_e32 vcc, 25, v64
	s_waitcnt lgkmcnt(4)
	global_store_dwordx4 v[22:23], v[2:5], off offset:1664
	s_waitcnt lgkmcnt(3)
	global_store_dwordx4 v[22:23], v[6:9], off offset:2080
	;; [unrolled: 2-line block ×5, first 2 shown]
	s_and_b64 exec, exec, vcc
	s_cbranch_execz .LBB0_26
; %bb.25:
	ds_read_b128 v[2:5], v140 offset:3344
	s_waitcnt lgkmcnt(0)
	global_store_dwordx4 v[0:1], v[2:5], off offset:3744
.LBB0_26:
	s_endpgm
	.section	.rodata,"a",@progbits
	.p2align	6, 0x0
	.amdhsa_kernel fft_rtc_fwd_len234_factors_13_9_2_wgs_52_tpt_26_dp_ip_CI_unitstride_sbrr_R2C_dirReg
		.amdhsa_group_segment_fixed_size 0
		.amdhsa_private_segment_fixed_size 0
		.amdhsa_kernarg_size 88
		.amdhsa_user_sgpr_count 6
		.amdhsa_user_sgpr_private_segment_buffer 1
		.amdhsa_user_sgpr_dispatch_ptr 0
		.amdhsa_user_sgpr_queue_ptr 0
		.amdhsa_user_sgpr_kernarg_segment_ptr 1
		.amdhsa_user_sgpr_dispatch_id 0
		.amdhsa_user_sgpr_flat_scratch_init 0
		.amdhsa_user_sgpr_private_segment_size 0
		.amdhsa_uses_dynamic_stack 0
		.amdhsa_system_sgpr_private_segment_wavefront_offset 0
		.amdhsa_system_sgpr_workgroup_id_x 1
		.amdhsa_system_sgpr_workgroup_id_y 0
		.amdhsa_system_sgpr_workgroup_id_z 0
		.amdhsa_system_sgpr_workgroup_info 0
		.amdhsa_system_vgpr_workitem_id 0
		.amdhsa_next_free_vgpr 203
		.amdhsa_next_free_sgpr 44
		.amdhsa_reserve_vcc 1
		.amdhsa_reserve_flat_scratch 0
		.amdhsa_float_round_mode_32 0
		.amdhsa_float_round_mode_16_64 0
		.amdhsa_float_denorm_mode_32 3
		.amdhsa_float_denorm_mode_16_64 3
		.amdhsa_dx10_clamp 1
		.amdhsa_ieee_mode 1
		.amdhsa_fp16_overflow 0
		.amdhsa_exception_fp_ieee_invalid_op 0
		.amdhsa_exception_fp_denorm_src 0
		.amdhsa_exception_fp_ieee_div_zero 0
		.amdhsa_exception_fp_ieee_overflow 0
		.amdhsa_exception_fp_ieee_underflow 0
		.amdhsa_exception_fp_ieee_inexact 0
		.amdhsa_exception_int_div_zero 0
	.end_amdhsa_kernel
	.text
.Lfunc_end0:
	.size	fft_rtc_fwd_len234_factors_13_9_2_wgs_52_tpt_26_dp_ip_CI_unitstride_sbrr_R2C_dirReg, .Lfunc_end0-fft_rtc_fwd_len234_factors_13_9_2_wgs_52_tpt_26_dp_ip_CI_unitstride_sbrr_R2C_dirReg
                                        ; -- End function
	.section	.AMDGPU.csdata,"",@progbits
; Kernel info:
; codeLenInByte = 8792
; NumSgprs: 48
; NumVgprs: 203
; ScratchSize: 0
; MemoryBound: 0
; FloatMode: 240
; IeeeMode: 1
; LDSByteSize: 0 bytes/workgroup (compile time only)
; SGPRBlocks: 5
; VGPRBlocks: 50
; NumSGPRsForWavesPerEU: 48
; NumVGPRsForWavesPerEU: 203
; Occupancy: 1
; WaveLimiterHint : 1
; COMPUTE_PGM_RSRC2:SCRATCH_EN: 0
; COMPUTE_PGM_RSRC2:USER_SGPR: 6
; COMPUTE_PGM_RSRC2:TRAP_HANDLER: 0
; COMPUTE_PGM_RSRC2:TGID_X_EN: 1
; COMPUTE_PGM_RSRC2:TGID_Y_EN: 0
; COMPUTE_PGM_RSRC2:TGID_Z_EN: 0
; COMPUTE_PGM_RSRC2:TIDIG_COMP_CNT: 0
	.type	__hip_cuid_e4a42c1a0f001c78,@object ; @__hip_cuid_e4a42c1a0f001c78
	.section	.bss,"aw",@nobits
	.globl	__hip_cuid_e4a42c1a0f001c78
__hip_cuid_e4a42c1a0f001c78:
	.byte	0                               ; 0x0
	.size	__hip_cuid_e4a42c1a0f001c78, 1

	.ident	"AMD clang version 19.0.0git (https://github.com/RadeonOpenCompute/llvm-project roc-6.4.0 25133 c7fe45cf4b819c5991fe208aaa96edf142730f1d)"
	.section	".note.GNU-stack","",@progbits
	.addrsig
	.addrsig_sym __hip_cuid_e4a42c1a0f001c78
	.amdgpu_metadata
---
amdhsa.kernels:
  - .args:
      - .actual_access:  read_only
        .address_space:  global
        .offset:         0
        .size:           8
        .value_kind:     global_buffer
      - .offset:         8
        .size:           8
        .value_kind:     by_value
      - .actual_access:  read_only
        .address_space:  global
        .offset:         16
        .size:           8
        .value_kind:     global_buffer
      - .actual_access:  read_only
        .address_space:  global
        .offset:         24
        .size:           8
        .value_kind:     global_buffer
      - .offset:         32
        .size:           8
        .value_kind:     by_value
      - .actual_access:  read_only
        .address_space:  global
        .offset:         40
        .size:           8
        .value_kind:     global_buffer
      - .actual_access:  read_only
        .address_space:  global
        .offset:         48
        .size:           8
        .value_kind:     global_buffer
      - .offset:         56
        .size:           4
        .value_kind:     by_value
      - .actual_access:  read_only
        .address_space:  global
        .offset:         64
        .size:           8
        .value_kind:     global_buffer
      - .actual_access:  read_only
        .address_space:  global
        .offset:         72
        .size:           8
        .value_kind:     global_buffer
      - .address_space:  global
        .offset:         80
        .size:           8
        .value_kind:     global_buffer
    .group_segment_fixed_size: 0
    .kernarg_segment_align: 8
    .kernarg_segment_size: 88
    .language:       OpenCL C
    .language_version:
      - 2
      - 0
    .max_flat_workgroup_size: 52
    .name:           fft_rtc_fwd_len234_factors_13_9_2_wgs_52_tpt_26_dp_ip_CI_unitstride_sbrr_R2C_dirReg
    .private_segment_fixed_size: 0
    .sgpr_count:     48
    .sgpr_spill_count: 0
    .symbol:         fft_rtc_fwd_len234_factors_13_9_2_wgs_52_tpt_26_dp_ip_CI_unitstride_sbrr_R2C_dirReg.kd
    .uniform_work_group_size: 1
    .uses_dynamic_stack: false
    .vgpr_count:     203
    .vgpr_spill_count: 0
    .wavefront_size: 64
amdhsa.target:   amdgcn-amd-amdhsa--gfx906
amdhsa.version:
  - 1
  - 2
...

	.end_amdgpu_metadata
